;; amdgpu-corpus repo=ROCm/rocFFT kind=compiled arch=gfx950 opt=O3
	.text
	.amdgcn_target "amdgcn-amd-amdhsa--gfx950"
	.amdhsa_code_object_version 6
	.protected	fft_rtc_fwd_len2400_factors_4_10_10_6_wgs_240_tpt_240_halfLds_sp_op_CI_CI_unitstride_sbrr_dirReg ; -- Begin function fft_rtc_fwd_len2400_factors_4_10_10_6_wgs_240_tpt_240_halfLds_sp_op_CI_CI_unitstride_sbrr_dirReg
	.globl	fft_rtc_fwd_len2400_factors_4_10_10_6_wgs_240_tpt_240_halfLds_sp_op_CI_CI_unitstride_sbrr_dirReg
	.p2align	8
	.type	fft_rtc_fwd_len2400_factors_4_10_10_6_wgs_240_tpt_240_halfLds_sp_op_CI_CI_unitstride_sbrr_dirReg,@function
fft_rtc_fwd_len2400_factors_4_10_10_6_wgs_240_tpt_240_halfLds_sp_op_CI_CI_unitstride_sbrr_dirReg: ; @fft_rtc_fwd_len2400_factors_4_10_10_6_wgs_240_tpt_240_halfLds_sp_op_CI_CI_unitstride_sbrr_dirReg
; %bb.0:
	s_load_dwordx4 s[8:11], s[0:1], 0x58
	s_load_dwordx4 s[4:7], s[0:1], 0x0
	;; [unrolled: 1-line block ×3, first 2 shown]
	v_mul_u32_u24_e32 v1, 0x112, v0
	v_add_u32_sdwa v10, s2, v1 dst_sel:DWORD dst_unused:UNUSED_PAD src0_sel:DWORD src1_sel:WORD_1
	v_mov_b32_e32 v8, 0
	s_waitcnt lgkmcnt(0)
	v_cmp_lt_u64_e64 s[2:3], s[6:7], 2
	v_mov_b32_e32 v11, v8
	s_and_b64 vcc, exec, s[2:3]
	v_mov_b64_e32 v[6:7], 0
	s_cbranch_vccnz .LBB0_8
; %bb.1:
	s_load_dwordx2 s[2:3], s[0:1], 0x10
	s_add_u32 s16, s14, 8
	s_addc_u32 s17, s15, 0
	s_add_u32 s18, s12, 8
	s_addc_u32 s19, s13, 0
	s_waitcnt lgkmcnt(0)
	s_add_u32 s20, s2, 8
	v_mov_b64_e32 v[6:7], 0
	s_addc_u32 s21, s3, 0
	s_mov_b64 s[22:23], 1
	v_mov_b64_e32 v[2:3], v[6:7]
.LBB0_2:                                ; =>This Inner Loop Header: Depth=1
	s_load_dwordx2 s[24:25], s[20:21], 0x0
                                        ; implicit-def: $vgpr4_vgpr5
	s_waitcnt lgkmcnt(0)
	v_or_b32_e32 v9, s25, v11
	v_cmp_ne_u64_e32 vcc, 0, v[8:9]
	s_and_saveexec_b64 s[2:3], vcc
	s_xor_b64 s[26:27], exec, s[2:3]
	s_cbranch_execz .LBB0_4
; %bb.3:                                ;   in Loop: Header=BB0_2 Depth=1
	v_cvt_f32_u32_e32 v1, s24
	v_cvt_f32_u32_e32 v4, s25
	s_sub_u32 s2, 0, s24
	s_subb_u32 s3, 0, s25
	v_fmac_f32_e32 v1, 0x4f800000, v4
	v_rcp_f32_e32 v1, v1
	s_nop 0
	v_mul_f32_e32 v1, 0x5f7ffffc, v1
	v_mul_f32_e32 v4, 0x2f800000, v1
	v_trunc_f32_e32 v4, v4
	v_fmac_f32_e32 v1, 0xcf800000, v4
	v_cvt_u32_f32_e32 v9, v4
	v_cvt_u32_f32_e32 v1, v1
	v_mul_lo_u32 v4, s2, v9
	v_mul_hi_u32 v12, s2, v1
	v_mul_lo_u32 v5, s3, v1
	v_add_u32_e32 v12, v12, v4
	v_mul_lo_u32 v14, s2, v1
	v_add_u32_e32 v15, v12, v5
	v_mul_hi_u32 v4, v1, v14
	v_mul_hi_u32 v13, v1, v15
	v_mul_lo_u32 v12, v1, v15
	v_mov_b32_e32 v5, v8
	v_lshl_add_u64 v[4:5], v[4:5], 0, v[12:13]
	v_mul_hi_u32 v13, v9, v14
	v_mul_lo_u32 v14, v9, v14
	v_add_co_u32_e32 v4, vcc, v4, v14
	v_mul_hi_u32 v12, v9, v15
	s_nop 0
	v_addc_co_u32_e32 v4, vcc, v5, v13, vcc
	v_mov_b32_e32 v5, v8
	s_nop 0
	v_addc_co_u32_e32 v13, vcc, 0, v12, vcc
	v_mul_lo_u32 v12, v9, v15
	v_lshl_add_u64 v[4:5], v[4:5], 0, v[12:13]
	v_add_co_u32_e32 v1, vcc, v1, v4
	v_mul_lo_u32 v12, s2, v1
	s_nop 0
	v_addc_co_u32_e32 v9, vcc, v9, v5, vcc
	v_mul_lo_u32 v4, s2, v9
	v_mul_hi_u32 v5, s2, v1
	v_add_u32_e32 v4, v5, v4
	v_mul_lo_u32 v5, s3, v1
	v_add_u32_e32 v14, v4, v5
	v_mul_hi_u32 v16, v9, v12
	v_mul_lo_u32 v17, v9, v12
	v_mul_hi_u32 v5, v1, v14
	v_mul_lo_u32 v4, v1, v14
	v_mul_hi_u32 v12, v1, v12
	v_mov_b32_e32 v13, v8
	v_lshl_add_u64 v[4:5], v[12:13], 0, v[4:5]
	v_add_co_u32_e32 v4, vcc, v4, v17
	v_mul_hi_u32 v15, v9, v14
	s_nop 0
	v_addc_co_u32_e32 v4, vcc, v5, v16, vcc
	v_mul_lo_u32 v12, v9, v14
	s_nop 0
	v_addc_co_u32_e32 v13, vcc, 0, v15, vcc
	v_mov_b32_e32 v5, v8
	v_lshl_add_u64 v[4:5], v[4:5], 0, v[12:13]
	v_add_co_u32_e32 v1, vcc, v1, v4
	v_mul_hi_u32 v12, v10, v1
	s_nop 0
	v_addc_co_u32_e32 v9, vcc, v9, v5, vcc
	v_mad_u64_u32 v[4:5], s[2:3], v10, v9, 0
	v_mov_b32_e32 v13, v8
	v_lshl_add_u64 v[4:5], v[12:13], 0, v[4:5]
	v_mad_u64_u32 v[14:15], s[2:3], v11, v1, 0
	v_add_co_u32_e32 v1, vcc, v4, v14
	v_mad_u64_u32 v[12:13], s[2:3], v11, v9, 0
	s_nop 0
	v_addc_co_u32_e32 v4, vcc, v5, v15, vcc
	v_mov_b32_e32 v5, v8
	s_nop 0
	v_addc_co_u32_e32 v13, vcc, 0, v13, vcc
	v_lshl_add_u64 v[4:5], v[4:5], 0, v[12:13]
	v_mul_lo_u32 v1, s25, v4
	v_mul_lo_u32 v9, s24, v5
	v_mad_u64_u32 v[12:13], s[2:3], s24, v4, 0
	v_add3_u32 v1, v13, v9, v1
	v_sub_u32_e32 v9, v11, v1
	v_mov_b32_e32 v13, s25
	v_sub_co_u32_e32 v16, vcc, v10, v12
	v_lshl_add_u64 v[14:15], v[4:5], 0, 1
	s_nop 0
	v_subb_co_u32_e64 v9, s[2:3], v9, v13, vcc
	v_subrev_co_u32_e64 v12, s[2:3], s24, v16
	v_subb_co_u32_e32 v1, vcc, v11, v1, vcc
	s_nop 0
	v_subbrev_co_u32_e64 v9, s[2:3], 0, v9, s[2:3]
	v_cmp_le_u32_e64 s[2:3], s25, v9
	v_cmp_le_u32_e32 vcc, s25, v1
	s_nop 0
	v_cndmask_b32_e64 v13, 0, -1, s[2:3]
	v_cmp_le_u32_e64 s[2:3], s24, v12
	s_nop 1
	v_cndmask_b32_e64 v12, 0, -1, s[2:3]
	v_cmp_eq_u32_e64 s[2:3], s25, v9
	s_nop 1
	v_cndmask_b32_e64 v9, v13, v12, s[2:3]
	v_lshl_add_u64 v[12:13], v[4:5], 0, 2
	v_cmp_ne_u32_e64 s[2:3], 0, v9
	s_nop 1
	v_cndmask_b32_e64 v9, v15, v13, s[2:3]
	v_cndmask_b32_e64 v13, 0, -1, vcc
	v_cmp_le_u32_e32 vcc, s24, v16
	s_nop 1
	v_cndmask_b32_e64 v15, 0, -1, vcc
	v_cmp_eq_u32_e32 vcc, s25, v1
	s_nop 1
	v_cndmask_b32_e32 v1, v13, v15, vcc
	v_cmp_ne_u32_e32 vcc, 0, v1
	v_cndmask_b32_e64 v1, v14, v12, s[2:3]
	s_nop 0
	v_cndmask_b32_e32 v5, v5, v9, vcc
	v_cndmask_b32_e32 v4, v4, v1, vcc
.LBB0_4:                                ;   in Loop: Header=BB0_2 Depth=1
	s_andn2_saveexec_b64 s[2:3], s[26:27]
	s_cbranch_execz .LBB0_6
; %bb.5:                                ;   in Loop: Header=BB0_2 Depth=1
	v_cvt_f32_u32_e32 v1, s24
	s_sub_i32 s26, 0, s24
	v_rcp_iflag_f32_e32 v1, v1
	s_nop 0
	v_mul_f32_e32 v1, 0x4f7ffffe, v1
	v_cvt_u32_f32_e32 v1, v1
	v_mul_lo_u32 v4, s26, v1
	v_mul_hi_u32 v4, v1, v4
	v_add_u32_e32 v1, v1, v4
	v_mul_hi_u32 v1, v10, v1
	v_mul_lo_u32 v4, v1, s24
	v_sub_u32_e32 v4, v10, v4
	v_add_u32_e32 v5, 1, v1
	v_subrev_u32_e32 v9, s24, v4
	v_cmp_le_u32_e32 vcc, s24, v4
	s_nop 1
	v_cndmask_b32_e32 v4, v4, v9, vcc
	v_cndmask_b32_e32 v1, v1, v5, vcc
	v_add_u32_e32 v5, 1, v1
	v_cmp_le_u32_e32 vcc, s24, v4
	s_nop 1
	v_cndmask_b32_e32 v4, v1, v5, vcc
	v_mov_b32_e32 v5, v8
.LBB0_6:                                ;   in Loop: Header=BB0_2 Depth=1
	s_or_b64 exec, exec, s[2:3]
	v_mad_u64_u32 v[12:13], s[2:3], v4, s24, 0
	s_load_dwordx2 s[2:3], s[18:19], 0x0
	v_mul_lo_u32 v1, v5, s24
	v_mul_lo_u32 v9, v4, s25
	s_load_dwordx2 s[24:25], s[16:17], 0x0
	s_add_u32 s22, s22, 1
	v_add3_u32 v1, v13, v9, v1
	v_sub_co_u32_e32 v9, vcc, v10, v12
	s_addc_u32 s23, s23, 0
	s_nop 0
	v_subb_co_u32_e32 v1, vcc, v11, v1, vcc
	s_add_u32 s16, s16, 8
	s_waitcnt lgkmcnt(0)
	v_mul_lo_u32 v10, s2, v1
	v_mul_lo_u32 v11, s3, v9
	v_mad_u64_u32 v[6:7], s[2:3], s2, v9, v[6:7]
	s_addc_u32 s17, s17, 0
	v_add3_u32 v7, v11, v7, v10
	v_mul_lo_u32 v1, s24, v1
	v_mul_lo_u32 v10, s25, v9
	v_mad_u64_u32 v[2:3], s[2:3], s24, v9, v[2:3]
	s_add_u32 s18, s18, 8
	v_add3_u32 v3, v10, v3, v1
	s_addc_u32 s19, s19, 0
	v_mov_b64_e32 v[10:11], s[6:7]
	s_add_u32 s20, s20, 8
	v_cmp_ge_u64_e32 vcc, s[22:23], v[10:11]
	s_addc_u32 s21, s21, 0
	s_cbranch_vccnz .LBB0_9
; %bb.7:                                ;   in Loop: Header=BB0_2 Depth=1
	v_mov_b64_e32 v[10:11], v[4:5]
	s_branch .LBB0_2
.LBB0_8:
	v_mov_b64_e32 v[2:3], v[6:7]
	v_mov_b64_e32 v[4:5], v[10:11]
.LBB0_9:
	s_load_dwordx2 s[2:3], s[0:1], 0x28
	s_lshl_b64 s[16:17], s[6:7], 3
	s_add_u32 s6, s14, s16
	s_addc_u32 s7, s15, s17
                                        ; implicit-def: $sgpr14
                                        ; implicit-def: $vgpr48
	s_waitcnt lgkmcnt(0)
	v_cmp_gt_u64_e64 s[0:1], s[2:3], v[4:5]
	v_cmp_le_u64_e32 vcc, s[2:3], v[4:5]
	s_and_saveexec_b64 s[2:3], vcc
	s_xor_b64 s[2:3], exec, s[2:3]
; %bb.10:
	s_mov_b32 s14, 0x1111112
	v_mul_hi_u32 v1, v0, s14
	v_mul_u32_u24_e32 v1, 0xf0, v1
	v_sub_u32_e32 v48, v0, v1
	s_mov_b32 s14, 0
                                        ; implicit-def: $vgpr0
                                        ; implicit-def: $vgpr6_vgpr7
; %bb.11:
	s_or_saveexec_b64 s[2:3], s[2:3]
	s_load_dwordx2 s[6:7], s[6:7], 0x0
	v_mov_b32_e32 v8, s14
	v_mov_b32_e32 v9, s14
	;; [unrolled: 1-line block ×4, first 2 shown]
                                        ; implicit-def: $vgpr33
                                        ; implicit-def: $vgpr13
                                        ; implicit-def: $vgpr35
                                        ; implicit-def: $vgpr21
                                        ; implicit-def: $vgpr30
                                        ; implicit-def: $vgpr28
                                        ; implicit-def: $vgpr14
                                        ; implicit-def: $vgpr24
                                        ; implicit-def: $vgpr39
                                        ; implicit-def: $vgpr23
                                        ; implicit-def: $vgpr18
                                        ; implicit-def: $vgpr26
                                        ; implicit-def: $vgpr37
                                        ; implicit-def: $vgpr17
	s_xor_b64 exec, exec, s[2:3]
	s_cbranch_execz .LBB0_15
; %bb.12:
	s_add_u32 s12, s12, s16
	s_addc_u32 s13, s13, s17
	s_load_dwordx2 s[12:13], s[12:13], 0x0
	s_mov_b32 s14, 0x1111112
	v_mov_b32_e32 v11, 0
                                        ; implicit-def: $vgpr31
	s_waitcnt lgkmcnt(0)
	v_mul_lo_u32 v1, s13, v4
	v_mul_lo_u32 v10, s12, v5
	v_mad_u64_u32 v[8:9], s[12:13], s12, v4, 0
	v_add3_u32 v9, v9, v10, v1
	v_mul_hi_u32 v1, v0, s14
	v_mul_u32_u24_e32 v1, 0xf0, v1
	v_sub_u32_e32 v48, v0, v1
	v_lshl_add_u64 v[0:1], v[8:9], 3, s[8:9]
	v_lshl_add_u64 v[0:1], v[6:7], 3, v[0:1]
	v_lshlrev_b32_e32 v10, 3, v48
	v_lshl_add_u64 v[24:25], v[0:1], 0, v[10:11]
	s_movk_i32 s8, 0x1000
	v_add_co_u32_e32 v8, vcc, s8, v24
	s_movk_i32 s8, 0x2000
	s_nop 0
	v_addc_co_u32_e32 v9, vcc, 0, v25, vcc
	v_add_co_u32_e32 v26, vcc, s8, v24
	global_load_dwordx2 v[14:15], v[24:25], off
	s_nop 0
	v_addc_co_u32_e32 v27, vcc, 0, v25, vcc
	global_load_dwordx2 v[0:1], v[26:27], off offset:1408
	v_add_co_u32_e32 v28, vcc, 0x3000, v24
	s_movk_i32 s8, 0x78
	s_nop 0
	v_addc_co_u32_e32 v29, vcc, 0, v25, vcc
	global_load_dwordx2 v[16:17], v[8:9], off offset:2624
	global_load_dwordx2 v[22:23], v[8:9], off offset:704
	;; [unrolled: 1-line block ×6, first 2 shown]
	v_cmp_gt_u32_e32 vcc, s8, v48
	v_mov_b32_e32 v10, v11
	v_mov_b32_e32 v9, v11
	;; [unrolled: 1-line block ×3, first 2 shown]
                                        ; implicit-def: $vgpr29
	s_and_saveexec_b64 s[8:9], vcc
	s_cbranch_execz .LBB0_14
; %bb.13:
	v_add_co_u32_e32 v26, vcc, 0x2000, v24
	s_nop 1
	v_addc_co_u32_e32 v27, vcc, 0, v25, vcc
	v_add_co_u32_e32 v32, vcc, 0x3000, v24
	s_nop 1
	v_addc_co_u32_e32 v33, vcc, 0, v25, vcc
	;; [unrolled: 3-line block ×3, first 2 shown]
	global_load_dwordx2 v[8:9], v[24:25], off offset:3840
	global_load_dwordx2 v[10:11], v[26:27], off offset:448
	;; [unrolled: 1-line block ×4, first 2 shown]
.LBB0_14:
	s_or_b64 exec, exec, s[8:9]
	s_waitcnt vmcnt(2)
	v_mov_b32_e32 v33, v12
	s_waitcnt vmcnt(1)
	v_mov_b32_e32 v35, v20
	v_mov_b32_e32 v24, v15
	;; [unrolled: 1-line block ×7, first 2 shown]
	s_waitcnt vmcnt(0)
	v_mov_b32_e32 v19, v6
	v_mov_b32_e32 v27, v7
.LBB0_15:
	s_or_b64 exec, exec, s[2:3]
	v_pk_add_f32 v[40:41], v[10:11], v[28:29] neg_lo:[0,1] neg_hi:[0,1]
	v_pk_add_f32 v[6:7], v[8:9], v[30:31] neg_lo:[0,1] neg_hi:[0,1]
	v_add_f32_e32 v0, v11, v11
	v_mov_b32_e32 v1, v10
	v_mov_b32_e32 v42, v41
	;; [unrolled: 1-line block ×3, first 2 shown]
	v_fma_f32 v30, v8, 2.0, -v6
	v_pk_add_f32 v[28:29], v[0:1], v[42:43] neg_lo:[0,1] neg_hi:[0,1]
	v_mov_b32_e32 v8, v15
	v_add_f32_e32 v38, v23, v23
	v_fma_f32 v40, v10, 2.0, -v29
	v_pk_add_f32 v[10:11], v[14:15], v[8:9] neg_lo:[0,1] neg_hi:[0,1]
	v_sub_f32_e32 v34, v23, v21
	v_fma_f32 v14, v14, 2.0, -v10
	v_mov_b32_e32 v15, v10
	v_pk_add_f32 v[10:11], v[38:39], v[34:35] neg_lo:[0,1] neg_hi:[0,1]
	v_mov_b32_e32 v23, v34
	v_fma_f32 v22, v39, 2.0, -v11
	v_pk_add_f32 v[22:23], v[14:15], v[22:23] neg_lo:[0,1] neg_hi:[0,1]
	v_add_f32_e32 v36, v17, v17
	v_lshl_add_u32 v20, v48, 4, 0
	v_pk_fma_f32 v[14:15], v[14:15], 2.0, v[22:23] op_sel_hi:[1,0,1] neg_lo:[0,0,1] neg_hi:[0,0,1]
	v_mov_b32_e32 v8, v19
	v_sub_f32_e32 v32, v17, v13
	ds_write2_b64 v20, v[14:15], v[22:23] offset1:1
	v_pk_add_f32 v[14:15], v[18:19], v[8:9] neg_lo:[0,1] neg_hi:[0,1]
	v_pk_add_f32 v[12:13], v[36:37], v[32:33] neg_lo:[0,1] neg_hi:[0,1]
	v_fma_f32 v16, v18, 2.0, -v14
	v_mov_b32_e32 v17, v14
	v_fma_f32 v14, v37, 2.0, -v13
	v_mov_b32_e32 v15, v32
	v_mov_b32_e32 v31, v6
	v_add_u32_e32 v21, 0xf0, v48
	v_pk_add_f32 v[14:15], v[16:17], v[14:15] neg_lo:[0,1] neg_hi:[0,1]
	v_add_u32_e32 v8, 0x1e0, v48
	s_movk_i32 s2, 0x78
	v_pk_add_f32 v[0:1], v[30:31], v[40:41] neg_lo:[0,1] neg_hi:[0,1]
	v_lshl_add_u32 v22, v21, 4, 0
	v_pk_fma_f32 v[16:17], v[16:17], 2.0, v[14:15] op_sel_hi:[1,0,1] neg_lo:[0,0,1] neg_hi:[0,0,1]
	v_cmp_gt_u32_e32 vcc, s2, v48
	v_lshl_add_u32 v32, v8, 4, 0
	ds_write2_b64 v22, v[16:17], v[14:15] offset1:1
	s_and_saveexec_b64 s[2:3], vcc
	s_cbranch_execz .LBB0_17
; %bb.16:
	v_pk_fma_f32 v[14:15], v[30:31], 2.0, v[0:1] op_sel_hi:[1,0,1] neg_lo:[0,0,1] neg_hi:[0,0,1]
	ds_write2_b64 v32, v[14:15], v[0:1] offset1:1
.LBB0_17:
	s_or_b64 exec, exec, s[2:3]
	v_mov_b32_e32 v8, v25
	v_pk_add_f32 v[14:15], v[24:25], v[8:9] neg_lo:[0,1] neg_hi:[0,1]
	v_mov_b32_e32 v8, v27
	v_fma_f32 v16, v24, 2.0, -v14
	v_mov_b32_e32 v17, v14
	v_pk_add_f32 v[14:15], v[26:27], v[8:9] neg_lo:[0,1] neg_hi:[0,1]
	v_fma_f32 v18, v9, 2.0, -v7
	v_mov_b32_e32 v19, v7
	v_fma_f32 v24, v26, 2.0, -v14
	v_pk_add_f32 v[8:9], v[6:7], v[28:29]
	v_pk_add_f32 v[6:7], v[18:19], v[28:29] neg_lo:[0,1] neg_hi:[0,1]
	v_pk_add_f32 v[26:27], v[16:17], v[10:11] neg_lo:[0,1] neg_hi:[0,1]
	v_pk_add_f32 v[28:29], v[16:17], v[10:11]
	v_mad_i32_i24 v10, v48, -12, v20
	v_mov_b32_e32 v27, v29
	v_add_u32_e32 v11, 0x780, v10
	v_pk_fma_f32 v[30:31], v[16:17], 2.0, v[26:27] op_sel_hi:[1,0,1] neg_lo:[0,0,1] neg_hi:[0,0,1]
	s_waitcnt lgkmcnt(0)
	s_barrier
	ds_read2_b32 v[16:17], v11 offset1:240
	v_add_u32_e32 v11, 0xf00, v10
	v_mov_b32_e32 v25, v14
	v_mov_b32_e32 v7, v9
	ds_read2_b32 v[8:9], v10 offset1:240
	ds_read2_b32 v[14:15], v11 offset1:240
	v_add_u32_e32 v11, 0x1680, v10
	v_add_u32_e32 v10, 0x1e00, v10
	v_pk_add_f32 v[34:35], v[24:25], v[12:13] neg_lo:[0,1] neg_hi:[0,1]
	v_pk_add_f32 v[36:37], v[24:25], v[12:13]
	ds_read2_b32 v[12:13], v11 offset1:240
	ds_read2_b32 v[10:11], v10 offset1:240
	v_mov_b32_e32 v35, v37
	v_mul_i32_i24_e32 v23, -12, v48
	v_pk_fma_f32 v[24:25], v[24:25], 2.0, v[34:35] op_sel_hi:[1,0,1] neg_lo:[0,0,1] neg_hi:[0,0,1]
	s_waitcnt lgkmcnt(0)
	s_barrier
	ds_write2_b64 v20, v[30:31], v[26:27] offset1:1
	ds_write2_b64 v22, v[24:25], v[34:35] offset1:1
	s_and_saveexec_b64 s[2:3], vcc
	s_cbranch_execz .LBB0_19
; %bb.18:
	v_pk_fma_f32 v[18:19], v[18:19], 2.0, v[6:7] op_sel_hi:[1,0,1] neg_lo:[0,0,1] neg_hi:[0,0,1]
	ds_write2_b64 v32, v[18:19], v[6:7] offset1:1
.LBB0_19:
	s_or_b64 exec, exec, s[2:3]
	v_and_b32_e32 v18, 3, v48
	v_mul_u32_u24_e32 v19, 9, v18
	v_lshlrev_b32_e32 v19, 3, v19
	s_waitcnt lgkmcnt(0)
	s_barrier
	global_load_dwordx4 v[24:27], v19, s[4:5]
	global_load_dwordx4 v[28:31], v19, s[4:5] offset:16
	global_load_dwordx4 v[32:35], v19, s[4:5] offset:32
	;; [unrolled: 1-line block ×3, first 2 shown]
	global_load_dwordx2 v[40:41], v19, s[4:5] offset:64
	v_add_u32_e32 v19, v20, v23
	ds_read2_b32 v[22:23], v19 offset1:240
	v_add_u32_e32 v20, 0x780, v19
	v_add_u32_e32 v49, 0xf00, v19
	;; [unrolled: 1-line block ×4, first 2 shown]
	ds_read2_b32 v[42:43], v20 offset1:240
	ds_read2_b32 v[44:45], v49 offset1:240
	;; [unrolled: 1-line block ×4, first 2 shown]
	s_mov_b32 s2, 0x3f737871
	s_mov_b32 s3, 0xbf737871
	;; [unrolled: 1-line block ×3, first 2 shown]
	s_waitcnt lgkmcnt(0)
	s_barrier
	s_mov_b32 s9, 0xbf167918
	s_mov_b32 s12, 0x3e9e377a
	;; [unrolled: 1-line block ×4, first 2 shown]
	s_waitcnt vmcnt(4)
	v_mul_f32_e32 v52, v23, v25
	v_mul_f32_e32 v25, v9, v25
	s_waitcnt vmcnt(3)
	v_mul_f32_e32 v57, v44, v31
	s_waitcnt vmcnt(2)
	v_mul_f32_e32 v59, v46, v35
	v_mul_f32_e32 v53, v42, v27
	;; [unrolled: 1-line block ×7, first 2 shown]
	s_waitcnt vmcnt(1)
	v_mul_f32_e32 v61, v50, v39
	v_fmac_f32_e32 v25, v23, v24
	v_mul_f32_e32 v23, v10, v39
	v_fma_f32 v14, v14, v30, -v57
	v_fma_f32 v12, v12, v34, -v59
	;; [unrolled: 1-line block ×4, first 2 shown]
	v_fmac_f32_e32 v27, v42, v26
	s_waitcnt vmcnt(0)
	v_mul_f32_e32 v24, v51, v41
	v_fma_f32 v17, v17, v28, -v55
	v_fmac_f32_e32 v29, v43, v28
	v_fma_f32 v10, v10, v38, -v61
	v_fmac_f32_e32 v23, v50, v38
	v_add_f32_e32 v28, v14, v12
	v_mul_f32_e32 v58, v45, v33
	v_mul_f32_e32 v33, v15, v33
	;; [unrolled: 1-line block ×5, first 2 shown]
	v_fmac_f32_e32 v31, v44, v30
	v_fmac_f32_e32 v35, v46, v34
	v_fma_f32 v11, v11, v40, -v24
	v_add_f32_e32 v24, v8, v16
	v_sub_f32_e32 v30, v27, v23
	v_add_f32_e32 v38, v16, v10
	v_fma_f32 v28, -0.5, v28, v8
	v_fma_f32 v15, v15, v32, -v58
	v_fmac_f32_e32 v33, v45, v32
	v_fma_f32 v13, v13, v36, -v60
	v_fmac_f32_e32 v37, v47, v36
	v_fmac_f32_e32 v26, v51, v40
	v_sub_f32_e32 v32, v31, v35
	v_sub_f32_e32 v34, v16, v14
	;; [unrolled: 1-line block ×5, first 2 shown]
	v_add_f32_e32 v24, v24, v14
	v_fmac_f32_e32 v8, -0.5, v38
	v_fmamk_f32 v38, v30, 0x3f737871, v28
	v_fmac_f32_e32 v28, 0xbf737871, v30
	v_add_f32_e32 v34, v34, v36
	v_add_f32_e32 v36, v39, v40
	;; [unrolled: 1-line block ×3, first 2 shown]
	v_fmamk_f32 v39, v32, 0xbf737871, v8
	v_fmac_f32_e32 v8, 0x3f737871, v32
	v_fmac_f32_e32 v38, 0x3f167918, v32
	;; [unrolled: 1-line block ×3, first 2 shown]
	v_add_f32_e32 v32, v31, v35
	v_add_f32_e32 v24, v24, v10
	v_fma_f32 v32, -0.5, v32, v22
	v_sub_f32_e32 v10, v16, v10
	v_fmac_f32_e32 v38, 0x3e9e377a, v34
	v_fmac_f32_e32 v28, 0x3e9e377a, v34
	v_fmamk_f32 v16, v10, 0xbf737871, v32
	v_sub_f32_e32 v12, v14, v12
	v_sub_f32_e32 v14, v27, v31
	;; [unrolled: 1-line block ×3, first 2 shown]
	v_fmac_f32_e32 v32, 0x3f737871, v10
	v_add_f32_e32 v41, v22, v27
	v_fmac_f32_e32 v16, 0xbf167918, v12
	v_add_f32_e32 v14, v14, v34
	v_fmac_f32_e32 v32, 0x3f167918, v12
	v_fmac_f32_e32 v39, 0x3f167918, v30
	;; [unrolled: 1-line block ×3, first 2 shown]
	v_add_f32_e32 v30, v41, v31
	v_fmac_f32_e32 v16, 0x3e9e377a, v14
	v_fmac_f32_e32 v32, 0x3e9e377a, v14
	v_add_f32_e32 v14, v27, v23
	v_add_f32_e32 v30, v30, v35
	v_fmac_f32_e32 v22, -0.5, v14
	v_add_f32_e32 v30, v30, v23
	v_fmamk_f32 v14, v12, 0x3f737871, v22
	v_sub_f32_e32 v27, v31, v27
	v_sub_f32_e32 v23, v35, v23
	v_fmac_f32_e32 v22, 0xbf737871, v12
	v_fmac_f32_e32 v14, 0xbf167918, v10
	v_add_f32_e32 v23, v27, v23
	v_fmac_f32_e32 v22, 0x3f167918, v10
	v_add_f32_e32 v12, v15, v13
	v_fmac_f32_e32 v14, 0x3e9e377a, v23
	v_fmac_f32_e32 v22, 0x3e9e377a, v23
	v_fma_f32 v12, -0.5, v12, v9
	v_sub_f32_e32 v23, v29, v26
	v_fmamk_f32 v27, v23, 0x3f737871, v12
	v_sub_f32_e32 v31, v33, v37
	v_sub_f32_e32 v34, v17, v15
	;; [unrolled: 1-line block ×3, first 2 shown]
	v_fmac_f32_e32 v12, 0xbf737871, v23
	v_fmac_f32_e32 v27, 0x3f167918, v31
	v_add_f32_e32 v34, v34, v35
	v_fmac_f32_e32 v12, 0xbf167918, v31
	v_add_f32_e32 v10, v9, v17
	v_fmac_f32_e32 v27, 0x3e9e377a, v34
	v_fmac_f32_e32 v12, 0x3e9e377a, v34
	v_add_f32_e32 v34, v17, v11
	v_add_f32_e32 v10, v10, v15
	v_fmac_f32_e32 v9, -0.5, v34
	v_fmac_f32_e32 v39, 0x3e9e377a, v36
	v_fmac_f32_e32 v8, 0x3e9e377a, v36
	v_add_f32_e32 v10, v10, v13
	v_fmamk_f32 v34, v31, 0xbf737871, v9
	v_sub_f32_e32 v35, v15, v17
	v_sub_f32_e32 v36, v13, v11
	v_fmac_f32_e32 v9, 0x3f737871, v31
	v_add_f32_e32 v31, v33, v37
	v_add_f32_e32 v10, v10, v11
	v_fmac_f32_e32 v34, 0x3f167918, v23
	v_add_f32_e32 v35, v35, v36
	v_fmac_f32_e32 v9, 0xbf167918, v23
	v_fma_f32 v31, -0.5, v31, v25
	v_sub_f32_e32 v11, v17, v11
	v_fmac_f32_e32 v34, 0x3e9e377a, v35
	v_fmac_f32_e32 v9, 0x3e9e377a, v35
	v_fmamk_f32 v17, v11, 0xbf737871, v31
	v_sub_f32_e32 v13, v15, v13
	v_sub_f32_e32 v15, v29, v33
	;; [unrolled: 1-line block ×3, first 2 shown]
	v_fmac_f32_e32 v31, 0x3f737871, v11
	v_add_f32_e32 v23, v25, v29
	v_fmac_f32_e32 v17, 0xbf167918, v13
	v_add_f32_e32 v15, v15, v35
	;; [unrolled: 2-line block ×3, first 2 shown]
	v_fmac_f32_e32 v17, 0x3e9e377a, v15
	v_fmac_f32_e32 v31, 0x3e9e377a, v15
	v_add_f32_e32 v15, v29, v26
	v_add_f32_e32 v23, v23, v37
	v_fmac_f32_e32 v25, -0.5, v15
	v_add_f32_e32 v23, v23, v26
	v_fmamk_f32 v15, v13, 0x3f737871, v25
	v_sub_f32_e32 v29, v33, v29
	v_sub_f32_e32 v26, v37, v26
	v_fmac_f32_e32 v25, 0xbf737871, v13
	v_add_f32_e32 v26, v29, v26
	v_fmac_f32_e32 v25, 0x3f167918, v11
	v_fmac_f32_e32 v25, 0x3e9e377a, v26
	v_mul_f32_e32 v35, 0x3e9e377a, v9
	v_fma_f32 v35, v25, s2, -v35
	v_mul_f32_e32 v25, 0x3e9e377a, v25
	v_fma_f32 v9, v9, s3, -v25
	v_fmac_f32_e32 v15, 0xbf167918, v11
	v_add_f32_e32 v25, v22, v9
	v_sub_f32_e32 v9, v22, v9
	v_lshrrev_b32_e32 v22, 2, v48
	v_fmac_f32_e32 v15, 0x3e9e377a, v26
	v_mul_f32_e32 v13, 0x3f167918, v17
	v_mul_u32_u24_e32 v22, 40, v22
	v_fmac_f32_e32 v13, 0x3f4f1bbd, v27
	v_mul_f32_e32 v29, 0x3f737871, v15
	v_mul_f32_e32 v37, 0x3f4f1bbd, v12
	v_or_b32_e32 v18, v22, v18
	v_add_f32_e32 v11, v24, v10
	v_add_f32_e32 v26, v38, v13
	v_fmac_f32_e32 v29, 0x3e9e377a, v34
	v_add_f32_e32 v36, v8, v35
	v_fma_f32 v37, v31, s8, -v37
	v_sub_f32_e32 v8, v8, v35
	v_lshl_add_u32 v18, v18, 2, 0
	s_movk_i32 s3, 0xcd
	v_add_f32_e32 v33, v39, v29
	v_add_f32_e32 v40, v28, v37
	v_sub_f32_e32 v10, v24, v10
	v_sub_f32_e32 v13, v38, v13
	;; [unrolled: 1-line block ×4, first 2 shown]
	ds_write2_b32 v18, v11, v26 offset1:4
	ds_write2_b32 v18, v33, v36 offset0:8 offset1:12
	ds_write2_b32 v18, v40, v10 offset0:16 offset1:20
	;; [unrolled: 1-line block ×4, first 2 shown]
	v_mul_lo_u16_sdwa v8, v48, s3 dst_sel:DWORD dst_unused:UNUSED_PAD src0_sel:BYTE_0 src1_sel:DWORD
	v_lshrrev_b16_e32 v66, 13, v8
	v_mul_f32_e32 v27, 0xbf167918, v27
	v_mul_f32_e32 v31, 0x3f4f1bbd, v31
	v_mul_lo_u16_e32 v8, 40, v66
	v_fmac_f32_e32 v27, 0x3f4f1bbd, v17
	v_mul_f32_e32 v34, 0xbf737871, v34
	v_fma_f32 v12, v12, s9, -v31
	v_sub_u16_e32 v67, v48, v8
	v_mov_b32_e32 v8, 9
	v_add_f32_e32 v42, v30, v23
	v_add_f32_e32 v17, v16, v27
	v_fmac_f32_e32 v34, 0x3e9e377a, v15
	v_add_f32_e32 v31, v32, v12
	v_sub_f32_e32 v12, v32, v12
	v_mul_u32_u24_sdwa v8, v67, v8 dst_sel:DWORD dst_unused:UNUSED_PAD src0_sel:BYTE_0 src1_sel:DWORD
	v_add_f32_e32 v15, v14, v34
	v_sub_f32_e32 v23, v30, v23
	v_sub_f32_e32 v16, v16, v27
	;; [unrolled: 1-line block ×3, first 2 shown]
	s_waitcnt lgkmcnt(0)
	s_barrier
	ds_read2_b32 v[26:27], v19 offset1:240
	ds_read2_b32 v[38:39], v20 offset1:240
	ds_read2_b32 v[40:41], v49 offset1:240
	ds_read2_b32 v[44:45], v54 offset1:240
	ds_read2_b32 v[46:47], v56 offset1:240
	s_waitcnt lgkmcnt(0)
	s_barrier
	ds_write2_b32 v18, v42, v17 offset1:4
	ds_write2_b32 v18, v15, v25 offset0:8 offset1:12
	ds_write2_b32 v18, v31, v23 offset0:16 offset1:20
	ds_write2_b32 v18, v16, v14 offset0:24 offset1:28
	ds_write2_b32 v18, v9, v12 offset0:32 offset1:36
	v_lshlrev_b32_e32 v12, 3, v8
	s_waitcnt lgkmcnt(0)
	s_barrier
	global_load_dwordx4 v[8:11], v12, s[4:5] offset:288
	global_load_dwordx4 v[14:17], v12, s[4:5] offset:304
	;; [unrolled: 1-line block ×4, first 2 shown]
	global_load_dwordx2 v[32:33], v12, s[4:5] offset:352
	ds_read2_b32 v[12:13], v19 offset1:240
	ds_read2_b32 v[50:51], v20 offset1:240
	;; [unrolled: 1-line block ×5, first 2 shown]
	s_waitcnt lgkmcnt(4)
	v_mov_b32_e32 v18, v13
	s_waitcnt lgkmcnt(0)
	s_barrier
	s_waitcnt vmcnt(4)
	v_pk_mul_f32 v[34:35], v[18:19], v[8:9] op_sel_hi:[0,1]
	v_mov_b32_e32 v18, v27
	v_pk_fma_f32 v[36:37], v[18:19], v[8:9], v[34:35] op_sel:[0,0,1] op_sel_hi:[0,1,0]
	v_pk_fma_f32 v[8:9], v[18:19], v[8:9], v[34:35] op_sel:[0,0,1] op_sel_hi:[0,1,0] neg_lo:[0,0,1] neg_hi:[0,0,1]
	v_mov_b32_e32 v18, v51
	s_waitcnt vmcnt(3)
	v_pk_mul_f32 v[34:35], v[18:19], v[14:15] op_sel_hi:[0,1]
	v_mov_b32_e32 v18, v39
	v_mov_b32_e32 v9, v37
	v_pk_fma_f32 v[36:37], v[18:19], v[14:15], v[34:35] op_sel:[0,0,1] op_sel_hi:[0,1,0]
	v_pk_fma_f32 v[34:35], v[18:19], v[14:15], v[34:35] op_sel:[0,0,1] op_sel_hi:[0,1,0] neg_lo:[0,0,1] neg_hi:[0,0,1]
	v_mov_b32_e32 v14, v53
	s_waitcnt vmcnt(2)
	v_pk_mul_f32 v[14:15], v[14:15], v[22:23] op_sel_hi:[0,1]
	v_mov_b32_e32 v18, v41
	v_mov_b32_e32 v35, v37
	v_pk_fma_f32 v[36:37], v[18:19], v[22:23], v[14:15] op_sel:[0,0,1] op_sel_hi:[0,1,0]
	v_pk_fma_f32 v[22:23], v[18:19], v[22:23], v[14:15] op_sel:[0,0,1] op_sel_hi:[0,1,0] neg_lo:[0,0,1] neg_hi:[0,0,1]
	v_mov_b32_e32 v14, v55
	s_waitcnt vmcnt(1)
	v_pk_mul_f32 v[14:15], v[14:15], v[28:29] op_sel_hi:[0,1]
	v_mov_b32_e32 v18, v45
	v_mov_b32_e32 v23, v37
	v_pk_fma_f32 v[36:37], v[18:19], v[28:29], v[14:15] op_sel:[0,0,1] op_sel_hi:[0,1,0]
	v_pk_fma_f32 v[28:29], v[18:19], v[28:29], v[14:15] op_sel:[0,0,1] op_sel_hi:[0,1,0] neg_lo:[0,0,1] neg_hi:[0,0,1]
	v_mov_b32_e32 v14, v57
	s_waitcnt vmcnt(0)
	v_pk_mul_f32 v[14:15], v[14:15], v[32:33] op_sel_hi:[0,1]
	v_mov_b32_e32 v18, v47
	v_mov_b32_e32 v29, v37
	v_pk_fma_f32 v[36:37], v[18:19], v[32:33], v[14:15] op_sel:[0,0,1] op_sel_hi:[0,1,0]
	v_pk_fma_f32 v[42:43], v[18:19], v[32:33], v[14:15] op_sel:[0,0,1] op_sel_hi:[0,1,0] neg_lo:[0,0,1] neg_hi:[0,0,1]
	v_mov_b32_e32 v43, v37
	v_pk_add_f32 v[32:33], v[22:23], v[28:29]
	v_pk_add_f32 v[60:61], v[34:35], v[42:43] neg_lo:[0,1] neg_hi:[0,1]
	v_pk_fma_f32 v[36:37], v[32:33], 0.5, v[8:9] op_sel_hi:[1,0,1] neg_lo:[1,0,0] neg_hi:[1,0,0]
	v_pk_add_f32 v[58:59], v[22:23], v[28:29] neg_lo:[0,1] neg_hi:[0,1]
	v_pk_fma_f32 v[32:33], v[60:61], s[2:3], v[36:37] op_sel:[1,0,0] op_sel_hi:[0,0,1] neg_lo:[1,0,0] neg_hi:[1,0,0]
	v_pk_add_f32 v[62:63], v[34:35], v[22:23] neg_lo:[0,1] neg_hi:[0,1]
	v_pk_add_f32 v[64:65], v[42:43], v[28:29] neg_lo:[0,1] neg_hi:[0,1]
	v_pk_fma_f32 v[36:37], v[60:61], s[2:3], v[36:37] op_sel:[1,0,0] op_sel_hi:[0,0,1]
	v_pk_fma_f32 v[32:33], v[58:59], s[8:9], v[32:33] op_sel:[1,0,0] op_sel_hi:[0,0,1] neg_lo:[1,0,0] neg_hi:[1,0,0]
	v_pk_add_f32 v[62:63], v[62:63], v[64:65]
	v_pk_fma_f32 v[36:37], v[58:59], s[8:9], v[36:37] op_sel:[1,0,0] op_sel_hi:[0,0,1]
	v_pk_add_f32 v[14:15], v[8:9], v[34:35]
	v_pk_fma_f32 v[32:33], v[62:63], s[12:13], v[32:33] op_sel_hi:[1,0,1]
	v_pk_fma_f32 v[36:37], v[62:63], s[12:13], v[36:37] op_sel_hi:[1,0,1]
	v_pk_add_f32 v[62:63], v[34:35], v[42:43]
	v_pk_add_f32 v[14:15], v[14:15], v[22:23]
	v_pk_fma_f32 v[8:9], v[62:63], 0.5, v[8:9] op_sel_hi:[1,0,1] neg_lo:[1,0,0] neg_hi:[1,0,0]
	v_pk_add_f32 v[14:15], v[14:15], v[28:29]
	v_pk_fma_f32 v[62:63], v[58:59], s[2:3], v[8:9] op_sel:[1,0,0] op_sel_hi:[0,0,1]
	v_pk_add_f32 v[22:23], v[22:23], v[34:35] neg_lo:[0,1] neg_hi:[0,1]
	v_pk_add_f32 v[28:29], v[28:29], v[42:43] neg_lo:[0,1] neg_hi:[0,1]
	v_pk_fma_f32 v[8:9], v[58:59], s[2:3], v[8:9] op_sel:[1,0,0] op_sel_hi:[0,0,1] neg_lo:[1,0,0] neg_hi:[1,0,0]
	v_pk_add_f32 v[22:23], v[22:23], v[28:29]
	v_pk_fma_f32 v[8:9], v[60:61], s[8:9], v[8:9] op_sel:[1,0,0] op_sel_hi:[0,0,1]
	v_pk_add_f32 v[14:15], v[14:15], v[42:43]
	v_pk_fma_f32 v[42:43], v[22:23], s[12:13], v[8:9] op_sel_hi:[1,0,1]
	v_mov_b32_e32 v9, v16
	v_mov_b32_e32 v51, v52
	;; [unrolled: 1-line block ×5, first 2 shown]
	v_pk_mul_f32 v[10:11], v[50:51], v[16:17]
	v_mov_b32_e32 v57, v54
	v_pk_fma_f32 v[28:29], v[38:39], v[8:9], v[10:11] neg_lo:[0,0,1] neg_hi:[0,0,1]
	v_pk_mul_f32 v[10:11], v[38:39], v[16:17]
	v_mov_b32_e32 v47, v44
	v_pk_fma_f32 v[38:39], v[50:51], v[8:9], v[10:11]
	v_mov_b32_e32 v9, v24
	v_mov_b32_e32 v24, v31
	;; [unrolled: 1-line block ×3, first 2 shown]
	v_pk_mul_f32 v[10:11], v[56:57], v[24:25]
	v_pk_fma_f32 v[62:63], v[60:61], s[8:9], v[62:63] op_sel:[1,0,0] op_sel_hi:[0,0,1] neg_lo:[1,0,0] neg_hi:[1,0,0]
	v_pk_fma_f32 v[30:31], v[46:47], v[8:9], v[10:11] neg_lo:[0,0,1] neg_hi:[0,0,1]
	v_pk_mul_f32 v[10:11], v[46:47], v[24:25]
	v_pk_add_f32 v[24:25], v[30:31], v[30:31] op_sel:[0,1] op_sel_hi:[1,0] neg_lo:[0,1] neg_hi:[0,1]
	v_pk_fma_f32 v[40:41], v[56:57], v[8:9], v[10:11]
	v_add_f32_e32 v8, v26, v28
	v_add_f32_e32 v8, v8, v29
	;; [unrolled: 1-line block ×4, first 2 shown]
	v_pk_add_f32 v[8:9], v[28:29], v[30:31]
	v_pk_add_f32 v[10:11], v[38:39], v[40:41] neg_lo:[0,1] neg_hi:[0,1]
	v_pk_fma_f32 v[16:17], v[8:9], 0.5, v[26:27] op_sel_hi:[1,0,0] neg_lo:[1,0,0] neg_hi:[1,0,0]
	v_pk_add_f32 v[8:9], v[28:29], v[28:29] op_sel:[0,1] op_sel_hi:[1,0] neg_lo:[0,1] neg_hi:[0,1]
	v_pk_fma_f32 v[34:35], v[22:23], s[12:13], v[62:63] op_sel_hi:[1,0,1]
	v_pk_mul_f32 v[22:23], v[10:11], s[8:9] op_sel_hi:[1,0]
	v_pk_add_f32 v[24:25], v[8:9], v[24:25]
	v_pk_fma_f32 v[8:9], v[10:11], s[2:3], v[16:17] op_sel:[0,0,1] op_sel_hi:[1,0,0]
	s_mov_b32 s9, s12
	v_pk_add_f32 v[26:27], v[8:9], v[22:23] op_sel:[0,1] op_sel_hi:[1,0]
	v_pk_add_f32 v[8:9], v[8:9], v[22:23] op_sel:[0,1] op_sel_hi:[1,0] neg_lo:[0,1] neg_hi:[0,1]
	v_mov_b32_e32 v44, v36
	v_mov_b32_e32 v27, v9
	v_pk_fma_f32 v[8:9], v[24:25], s[12:13], v[26:27] op_sel_hi:[1,0,1]
	v_mov_b32_e32 v26, v33
	v_mov_b32_e32 v27, v34
	v_pk_mul_f32 v[26:27], v[26:27], s[8:9]
	v_mov_b32_e32 v45, v43
	v_pk_fma_f32 v[46:47], v[36:37], s[14:15], v[26:27]
	v_pk_fma_f32 v[26:27], v[44:45], s[14:15], v[26:27] neg_lo:[0,0,1] neg_hi:[0,0,1]
	v_pk_fma_f32 v[10:11], v[10:11], s[2:3], v[16:17] op_sel:[0,0,1] op_sel_hi:[1,0,0] neg_lo:[1,0,0] neg_hi:[1,0,0]
	v_mov_b32_e32 v47, v27
	v_pk_add_f32 v[16:17], v[10:11], v[22:23] op_sel:[0,1] op_sel_hi:[1,0] neg_lo:[0,1] neg_hi:[0,1]
	v_pk_add_f32 v[10:11], v[10:11], v[22:23] op_sel:[0,1] op_sel_hi:[1,0]
	v_pk_add_f32 v[26:27], v[8:9], v[46:47]
	v_pk_add_f32 v[8:9], v[8:9], v[46:47] neg_lo:[0,1] neg_hi:[0,1]
	v_mov_b32_e32 v46, v32
	v_mov_b32_e32 v47, v35
	;; [unrolled: 1-line block ×5, first 2 shown]
	v_pk_mul_f32 v[46:47], v[46:47], s[14:15]
	v_pk_fma_f32 v[10:11], v[24:25], s[12:13], v[16:17] op_sel_hi:[1,0,1]
	v_mov_b32_e32 v16, 2
	v_add_f32_e32 v18, v13, v14
	v_sub_f32_e32 v13, v13, v14
	v_pk_fma_f32 v[50:51], v[44:45], s[8:9], v[46:47] neg_lo:[0,0,1] neg_hi:[0,0,1]
	v_pk_fma_f32 v[44:45], v[44:45], s[8:9], v[46:47]
	v_mul_u32_u24_e32 v14, 0x640, v66
	v_lshlrev_b32_sdwa v16, v16, v67 dst_sel:DWORD dst_unused:UNUSED_PAD src0_sel:DWORD src1_sel:BYTE_0
	v_mov_b32_e32 v51, v45
	v_add3_u32 v17, 0, v14, v16
	v_pk_add_f32 v[22:23], v[10:11], v[50:51]
	v_pk_add_f32 v[10:11], v[10:11], v[50:51] neg_lo:[0,1] neg_hi:[0,1]
	ds_write2_b32 v17, v18, v26 offset1:40
	ds_write2_b32 v17, v23, v27 offset0:80 offset1:120
	ds_write2_b32 v17, v22, v13 offset0:160 offset1:200
	v_add_u32_e32 v13, 0x200, v17
	ds_write2_b32 v13, v8, v11 offset0:112 offset1:152
	v_add_u32_e32 v13, 0x400, v17
	ds_write2_b32 v13, v9, v10 offset0:64 offset1:104
	s_waitcnt lgkmcnt(0)
	s_barrier
	ds_read_b32 v16, v19
	ds_read_b32 v18, v19 offset:1600
	ds_read_b32 v24, v19 offset:3200
	;; [unrolled: 1-line block ×5, first 2 shown]
	s_movk_i32 s2, 0xa0
	s_movk_i32 s8, 0x9f
	v_cmp_gt_u32_e64 s[2:3], s2, v48
	v_cmp_lt_u32_e32 vcc, s8, v48
	s_and_saveexec_b64 s[8:9], vcc
	s_xor_b64 s[8:9], exec, s[8:9]
	s_or_saveexec_b64 s[8:9], s[8:9]
	v_mov_b32_e32 v46, v43
	v_mov_b32_e32 v47, v42
	v_mov_b32_e32 v42, v29
	v_mov_b32_e32 v44, v31
	s_xor_b64 exec, exec, s[8:9]
	s_cbranch_execz .LBB0_21
; %bb.20:
	ds_read_b32 v8, v19 offset:960
	ds_read_b32 v11, v19 offset:2560
	;; [unrolled: 1-line block ×6, first 2 shown]
.LBB0_21:
	s_or_b64 exec, exec, s[8:9]
	s_mov_b32 s8, 0xbf167918
	s_mov_b32 s9, 0x3f4f1bbd
	;; [unrolled: 1-line block ×4, first 2 shown]
	v_pk_mul_f32 v[36:37], v[36:37], s[12:13]
	v_add_f32_e32 v13, v12, v38
	v_pk_fma_f32 v[32:33], v[32:33], s[8:9], v[36:37] op_sel:[0,0,1] op_sel_hi:[1,1,0] neg_lo:[0,0,1] neg_hi:[0,0,1]
	s_mov_b32 s8, 0xbf737871
	s_mov_b32 s9, 0x3e9e377a
	;; [unrolled: 1-line block ×4, first 2 shown]
	v_add_f32_e32 v13, v13, v39
	v_pk_mul_f32 v[36:37], v[46:47], s[14:15]
	v_add_f32_e32 v13, v13, v41
	v_pk_fma_f32 v[34:35], v[34:35], s[8:9], v[36:37]
	v_add_f32_e32 v23, v13, v40
	v_pk_add_f32 v[36:37], v[38:39], v[40:41]
	v_mov_b32_e32 v46, v38
	v_mov_b32_e32 v47, v40
	v_mov_b32_e32 v40, v39
	v_pk_add_f32 v[38:39], v[46:47], v[40:41] neg_lo:[0,1] neg_hi:[0,1]
	v_mul_f32_e32 v45, 0.5, v37
	v_add_f32_e32 v13, v38, v39
	v_mul_f32_e32 v31, 0.5, v36
	v_pk_add_f32 v[36:37], v[40:41], v[46:47] neg_lo:[0,1] neg_hi:[0,1]
	v_mul_f32_e32 v14, 0x3e9e377a, v13
	v_add_f32_e32 v13, v36, v37
	v_mov_b32_e32 v43, v12
	v_mov_b32_e32 v29, v12
	v_mul_f32_e32 v36, 0x3e9e377a, v13
	v_pk_add_f32 v[38:39], v[42:43], v[44:45] neg_lo:[0,1] neg_hi:[0,1]
	v_pk_add_f32 v[12:13], v[28:29], v[30:31] neg_lo:[0,1] neg_hi:[0,1]
	v_mov_b32_e32 v28, 0x3f167918
	v_mul_f32_e32 v29, 0x3f737871, v12
	v_pk_mul_f32 v[40:41], v[38:39], s[12:13]
	v_pk_add_f32 v[30:31], v[38:39], v[28:29] neg_lo:[0,1] neg_hi:[0,1]
	v_fmamk_f32 v42, v12, 0x3f737871, v39
	v_mov_b32_e32 v43, v40
	v_pk_add_f32 v[30:31], v[30:31], v[42:43] neg_lo:[0,1] neg_hi:[0,1]
	v_pk_fma_f32 v[40:41], v[38:39], v[28:29], v[42:43]
	v_mul_f32_e32 v25, 0x3f737871, v38
	v_mov_b32_e32 v41, v31
	v_pk_add_f32 v[30:31], v[14:15], v[40:41] op_sel_hi:[0,1]
	v_mov_b32_e32 v29, v25
	v_pk_mul_f32 v[40:41], v[12:13], s[12:13]
	v_pk_add_f32 v[42:43], v[12:13], v[28:29]
	v_fmamk_f32 v38, v38, 0xbf737871, v13
	v_mov_b32_e32 v39, v40
	v_pk_fma_f32 v[12:13], v[12:13], v[28:29], v[38:39]
	v_pk_add_f32 v[28:29], v[42:43], v[38:39] neg_lo:[0,1] neg_hi:[0,1]
	v_add_f32_e32 v27, v23, v15
	v_mov_b32_e32 v13, v29
	v_pk_add_f32 v[12:13], v[36:37], v[12:13] op_sel_hi:[0,1]
	v_pk_add_f32 v[28:29], v[30:31], v[32:33]
	v_sub_f32_e32 v23, v23, v15
	v_pk_add_f32 v[36:37], v[12:13], v[34:35]
	v_pk_add_f32 v[14:15], v[12:13], v[34:35] neg_lo:[0,1] neg_hi:[0,1]
	v_pk_add_f32 v[12:13], v[30:31], v[32:33] neg_lo:[0,1] neg_hi:[0,1]
	s_waitcnt lgkmcnt(0)
	s_barrier
	ds_write2_b32 v17, v27, v29 offset1:40
	ds_write2_b32 v17, v37, v36 offset0:80 offset1:120
	ds_write2_b32 v17, v28, v23 offset0:160 offset1:200
	v_add_u32_e32 v23, 0x200, v17
	v_add_u32_e32 v17, 0x400, v17
	ds_write2_b32 v23, v13, v15 offset0:112 offset1:152
	ds_write2_b32 v17, v14, v12 offset0:64 offset1:104
	s_waitcnt lgkmcnt(0)
	s_barrier
	ds_read_b32 v17, v19
	ds_read_b32 v28, v19 offset:1600
	ds_read_b32 v32, v19 offset:3200
	;; [unrolled: 1-line block ×5, first 2 shown]
	s_and_saveexec_b64 s[8:9], vcc
	s_xor_b64 s[8:9], exec, s[8:9]
	s_cbranch_execnz .LBB0_25
; %bb.22:
	s_andn2_saveexec_b64 s[8:9], s[8:9]
	s_cbranch_execnz .LBB0_26
.LBB0_23:
	s_or_b64 exec, exec, s[8:9]
	s_and_saveexec_b64 s[8:9], s[0:1]
	s_cbranch_execnz .LBB0_27
.LBB0_24:
	s_endpgm
.LBB0_25:
                                        ; implicit-def: $vgpr19
	s_andn2_saveexec_b64 s[8:9], s[8:9]
	s_cbranch_execz .LBB0_23
.LBB0_26:
	ds_read_b32 v13, v19 offset:960
	ds_read_b32 v15, v19 offset:2560
	;; [unrolled: 1-line block ×6, first 2 shown]
	s_or_b64 exec, exec, s[8:9]
	s_and_saveexec_b64 s[8:9], s[0:1]
	s_cbranch_execz .LBB0_24
.LBB0_27:
	v_mul_u32_u24_e32 v19, 5, v48
	v_lshlrev_b32_e32 v19, 3, v19
	global_load_dwordx4 v[38:41], v19, s[4:5] offset:3168
	global_load_dwordx4 v[42:45], v19, s[4:5] offset:3184
	global_load_dwordx2 v[46:47], v19, s[4:5] offset:3200
	v_mul_lo_u32 v23, s6, v5
	v_mad_u64_u32 v[50:51], s[0:1], s6, v4, 0
	s_mov_b32 s6, 0x51eb851f
	v_mul_lo_u32 v19, s7, v4
	v_mul_hi_u32 v4, v48, s6
	v_lshrrev_b32_e32 v4, 7, v4
	v_add3_u32 v51, v51, v23, v19
	v_mul_u32_u24_e32 v4, 0x190, v4
	v_lshl_add_u64 v[50:51], v[50:51], 3, s[10:11]
	v_sub_u32_e32 v4, v48, v4
	v_mov_b32_e32 v5, 0
	v_lshl_add_u64 v[2:3], v[2:3], 3, v[50:51]
	v_lshlrev_b32_e32 v4, 3, v4
	s_movk_i32 s8, 0x1000
	v_lshl_add_u64 v[50:51], v[2:3], 0, v[4:5]
	s_mov_b32 s0, 0x3f5db3d7
	v_add_co_u32_e32 v52, vcc, s8, v50
	s_mov_b32 s1, 0xbf5db3d7
	s_movk_i32 s9, 0x2000
	v_addc_co_u32_e32 v53, vcc, 0, v51, vcc
	v_add_co_u32_e32 v54, vcc, s9, v50
	s_movk_i32 s7, 0x190
	s_nop 0
	v_addc_co_u32_e32 v55, vcc, 0, v51, vcc
	v_add_co_u32_e32 v56, vcc, 0x3000, v50
	s_waitcnt vmcnt(2) lgkmcnt(3)
	v_pk_mul_f32 v[32:33], v[32:33], v[40:41] op_sel_hi:[0,1]
	s_waitcnt vmcnt(1) lgkmcnt(1)
	v_pk_mul_f32 v[36:37], v[36:37], v[44:45] op_sel_hi:[0,1]
	v_pk_mul_f32 v[30:31], v[30:31], v[42:43] op_sel_hi:[0,1]
	s_waitcnt vmcnt(0) lgkmcnt(0)
	v_pk_mul_f32 v[34:35], v[34:35], v[46:47] op_sel_hi:[0,1]
	v_pk_mul_f32 v[28:29], v[28:29], v[38:39] op_sel_hi:[0,1]
	v_pk_fma_f32 v[58:59], v[24:25], v[40:41], v[32:33] op_sel:[0,0,1] op_sel_hi:[1,1,0] neg_lo:[0,0,1] neg_hi:[0,0,1]
	v_pk_fma_f32 v[24:25], v[24:25], v[40:41], v[32:33] op_sel:[0,0,1] op_sel_hi:[0,1,0]
	v_pk_fma_f32 v[32:33], v[26:27], v[44:45], v[36:37] op_sel:[0,0,1] op_sel_hi:[1,1,0] neg_lo:[0,0,1] neg_hi:[0,0,1]
	v_pk_fma_f32 v[26:27], v[26:27], v[44:45], v[36:37] op_sel:[0,0,1] op_sel_hi:[0,1,0]
	;; [unrolled: 2-line block ×5, first 2 shown]
	v_mov_b32_e32 v37, v31
	v_mov_b32_e32 v41, v23
	;; [unrolled: 1-line block ×5, first 2 shown]
	v_pk_add_f32 v[26:27], v[36:37], v[40:41]
	v_pk_add_f32 v[18:19], v[16:17], v[58:59]
	;; [unrolled: 1-line block ×3, first 2 shown]
	v_pk_add_f32 v[24:25], v[36:37], v[40:41] neg_lo:[0,1] neg_hi:[0,1]
	v_pk_fma_f32 v[26:27], v[26:27], 0.5, v[34:35] op_sel_hi:[1,0,1] neg_lo:[1,0,0] neg_hi:[1,0,0]
	v_pk_add_f32 v[28:29], v[58:59], v[32:33]
	v_pk_add_f32 v[30:31], v[58:59], v[32:33] neg_lo:[0,1] neg_hi:[0,1]
	v_pk_add_f32 v[18:19], v[18:19], v[32:33]
	v_pk_add_f32 v[22:23], v[22:23], v[40:41]
	v_pk_fma_f32 v[32:33], v[24:25], s[0:1], v[26:27] op_sel:[0,0,1] op_sel_hi:[1,0,0]
	v_pk_fma_f32 v[24:25], v[24:25], s[0:1], v[26:27] op_sel:[0,0,1] op_sel_hi:[1,0,0] neg_lo:[1,0,0] neg_hi:[1,0,0]
	v_pk_fma_f32 v[16:17], v[28:29], 0.5, v[16:17] op_sel_hi:[1,0,1] neg_lo:[1,0,0] neg_hi:[1,0,0]
	v_pk_mul_f32 v[28:29], v[30:31], s[0:1] op_sel_hi:[1,0]
	v_pk_add_f32 v[30:31], v[18:19], v[22:23]
	v_pk_add_f32 v[18:19], v[18:19], v[22:23] neg_lo:[0,1] neg_hi:[0,1]
	v_mov_b32_e32 v22, v32
	v_mov_b32_e32 v23, v25
	v_mul_f32_e32 v4, 0xbf5db3d7, v33
	v_mul_f32_e32 v20, 0x3f5db3d7, v24
	v_pk_add_f32 v[26:27], v[16:17], v[28:29] op_sel:[0,1] op_sel_hi:[1,0] neg_lo:[0,1] neg_hi:[0,1]
	v_pk_add_f32 v[16:17], v[16:17], v[28:29] op_sel:[0,1] op_sel_hi:[1,0]
	global_store_dwordx2 v[54:55], v[18:19], off offset:1408
	v_pk_mul_f32 v[18:19], v[22:23], 0.5 op_sel_hi:[1,0]
	v_fmac_f32_e32 v4, 0.5, v24
	v_fmac_f32_e32 v20, 0.5, v33
	v_mov_b32_e32 v28, v26
	v_mov_b32_e32 v29, v17
	v_pk_fma_f32 v[18:19], v[22:23], s[0:1], v[18:19] op_sel:[0,0,1] op_sel_hi:[1,1,0] neg_lo:[0,0,1] neg_hi:[0,0,1]
	v_sub_f32_e32 v22, v16, v20
	v_add_f32_e32 v17, v27, v4
	v_add_f32_e32 v16, v16, v20
	global_store_dwordx2 v[50:51], v[30:31], off
	v_pk_add_f32 v[24:25], v[28:29], v[18:19]
	global_store_dwordx2 v[50:51], v[16:17], off offset:3200
	global_store_dwordx2 v[52:53], v[24:25], off offset:2304
	v_addc_co_u32_e32 v57, vcc, 0, v51, vcc
	v_pk_add_f32 v[16:17], v[28:29], v[18:19] neg_lo:[0,1] neg_hi:[0,1]
	global_store_dwordx2 v[56:57], v[16:17], off offset:3712
	v_add_u32_e32 v16, 0xf0, v48
	v_sub_f32_e32 v23, v27, v4
	v_cmp_gt_u32_e32 vcc, s7, v16
	global_store_dwordx2 v[56:57], v[22:23], off offset:512
	s_and_b64 exec, exec, vcc
	s_cbranch_execz .LBB0_24
; %bb.28:
	v_add_u32_e32 v4, 0xffffff60, v48
	v_cndmask_b32_e64 v4, v4, v21, s[2:3]
	v_mul_i32_i24_e32 v4, 5, v4
	v_lshl_add_u64 v[26:27], v[4:5], 3, s[4:5]
	global_load_dwordx4 v[18:21], v[26:27], off offset:3168
	global_load_dwordx4 v[22:25], v[26:27], off offset:3184
	global_load_dwordx2 v[28:29], v[26:27], off offset:3200
	v_add_u32_e32 v4, 0x280, v48
	v_lshl_add_u64 v[26:27], v[4:5], 3, v[2:3]
	v_add_u32_e32 v4, 0x410, v48
	v_lshl_add_u64 v[30:31], v[4:5], 3, v[2:3]
	;; [unrolled: 2-line block ×3, first 2 shown]
	v_add_u32_e32 v4, 0x730, v48
	v_mov_b32_e32 v17, v5
	v_lshl_add_u64 v[34:35], v[4:5], 3, v[2:3]
	v_add_u32_e32 v4, 0x8c0, v48
	v_lshl_add_u64 v[16:17], v[16:17], 3, v[2:3]
	v_lshl_add_u64 v[2:3], v[4:5], 3, v[2:3]
	s_waitcnt vmcnt(2)
	v_pk_mul_f32 v[4:5], v[10:11], v[18:19] op_sel:[1,0]
	v_pk_mul_f32 v[36:37], v[14:15], v[20:21] op_sel_hi:[0,1]
	s_waitcnt vmcnt(1)
	v_pk_mul_f32 v[10:11], v[10:11], v[22:23] op_sel_hi:[0,1]
	v_pk_mul_f32 v[38:39], v[6:7], v[24:25] op_sel_hi:[0,1]
	s_waitcnt vmcnt(0)
	v_pk_mul_f32 v[40:41], v[0:1], v[28:29] op_sel:[1,0]
	v_pk_fma_f32 v[42:43], v[14:15], v[18:19], v[4:5] op_sel:[1,0,1] op_sel_hi:[1,1,0]
	v_pk_fma_f32 v[4:5], v[14:15], v[18:19], v[4:5] op_sel:[1,0,1] op_sel_hi:[1,1,0] neg_lo:[1,0,0] neg_hi:[1,0,0]
	v_pk_fma_f32 v[14:15], v[8:9], v[20:21], v[36:37] op_sel:[1,0,1] op_sel_hi:[1,1,0] neg_lo:[0,0,1] neg_hi:[0,0,1]
	v_pk_fma_f32 v[18:19], v[8:9], v[20:21], v[36:37] op_sel:[1,0,1] op_sel_hi:[1,1,0]
	v_pk_fma_f32 v[20:21], v[12:13], v[22:23], v[10:11] op_sel:[0,0,1] op_sel_hi:[1,1,0]
	v_pk_fma_f32 v[10:11], v[12:13], v[22:23], v[10:11] op_sel:[0,0,1] op_sel_hi:[0,1,0] neg_lo:[1,0,0] neg_hi:[1,0,0]
	v_pk_fma_f32 v[22:23], v[0:1], v[24:25], v[38:39] op_sel:[0,0,1] op_sel_hi:[1,1,0] neg_lo:[0,0,1] neg_hi:[0,0,1]
	v_pk_fma_f32 v[0:1], v[0:1], v[24:25], v[38:39] op_sel:[0,0,1] op_sel_hi:[0,1,0]
	v_pk_fma_f32 v[24:25], v[6:7], v[28:29], v[40:41] op_sel:[1,0,1] op_sel_hi:[1,1,0]
	v_pk_fma_f32 v[6:7], v[6:7], v[28:29], v[40:41] op_sel:[1,0,1] op_sel_hi:[1,1,0] neg_lo:[1,0,0] neg_hi:[1,0,0]
	v_mov_b32_e32 v15, v19
	v_mov_b32_e32 v21, v11
	;; [unrolled: 1-line block ×6, first 2 shown]
	v_pk_add_f32 v[0:1], v[14:15], v[22:23]
	v_pk_add_f32 v[4:5], v[14:15], v[22:23] neg_lo:[0,1] neg_hi:[0,1]
	v_pk_add_f32 v[6:7], v[20:21], v[24:25]
	v_pk_add_f32 v[10:11], v[20:21], v[24:25] neg_lo:[0,1] neg_hi:[0,1]
	v_pk_add_f32 v[12:13], v[8:9], v[14:15]
	v_pk_add_f32 v[14:15], v[42:43], v[20:21]
	v_pk_fma_f32 v[0:1], v[0:1], 0.5, v[8:9] op_sel_hi:[1,0,1] neg_lo:[1,0,0] neg_hi:[1,0,0]
	v_pk_mul_f32 v[4:5], v[4:5], s[0:1] op_sel_hi:[1,0]
	v_pk_fma_f32 v[6:7], v[6:7], 0.5, v[42:43] op_sel_hi:[1,0,1] neg_lo:[1,0,0] neg_hi:[1,0,0]
	v_pk_mul_f32 v[8:9], v[10:11], s[0:1] op_sel_hi:[1,0]
	v_pk_add_f32 v[10:11], v[12:13], v[22:23]
	v_pk_add_f32 v[12:13], v[14:15], v[24:25]
	v_pk_add_f32 v[14:15], v[4:5], v[0:1] op_sel:[1,0] op_sel_hi:[0,1]
	v_pk_add_f32 v[0:1], v[0:1], v[4:5] op_sel:[0,1] op_sel_hi:[1,0] neg_lo:[0,1] neg_hi:[0,1]
	v_pk_add_f32 v[4:5], v[8:9], v[6:7] op_sel:[1,0] op_sel_hi:[0,1]
	v_pk_add_f32 v[6:7], v[6:7], v[8:9] op_sel:[0,1] op_sel_hi:[1,0] neg_lo:[0,1] neg_hi:[0,1]
	;; [unrolled: 2-line block ×3, first 2 shown]
	v_mov_b32_e32 v12, v0
	v_mov_b32_e32 v13, v15
	;; [unrolled: 1-line block ×4, first 2 shown]
	v_mul_f32_e32 v0, 0x3f5db3d7, v6
	v_mul_f32_e32 v15, 0xbf5db3d7, v5
	v_fmac_f32_e32 v0, 0.5, v5
	v_pk_mul_f32 v[4:5], v[18:19], 0.5 op_sel_hi:[1,0]
	v_fmac_f32_e32 v15, 0.5, v6
	v_add_f32_e32 v6, v14, v0
	v_pk_fma_f32 v[4:5], v[18:19], s[0:1], v[4:5] op_sel:[0,0,1] op_sel_hi:[1,1,0] neg_lo:[0,0,1] neg_hi:[0,0,1]
	v_add_f32_e32 v7, v1, v15
	global_store_dwordx2 v[16:17], v[8:9], off
	global_store_dwordx2 v[32:33], v[10:11], off
	v_sub_f32_e32 v0, v14, v0
	v_sub_f32_e32 v1, v1, v15
	v_pk_add_f32 v[8:9], v[12:13], v[4:5]
	v_pk_add_f32 v[4:5], v[12:13], v[4:5] neg_lo:[0,1] neg_hi:[0,1]
	global_store_dwordx2 v[26:27], v[6:7], off
	global_store_dwordx2 v[34:35], v[0:1], off
	;; [unrolled: 1-line block ×4, first 2 shown]
	s_endpgm
	.section	.rodata,"a",@progbits
	.p2align	6, 0x0
	.amdhsa_kernel fft_rtc_fwd_len2400_factors_4_10_10_6_wgs_240_tpt_240_halfLds_sp_op_CI_CI_unitstride_sbrr_dirReg
		.amdhsa_group_segment_fixed_size 0
		.amdhsa_private_segment_fixed_size 0
		.amdhsa_kernarg_size 104
		.amdhsa_user_sgpr_count 2
		.amdhsa_user_sgpr_dispatch_ptr 0
		.amdhsa_user_sgpr_queue_ptr 0
		.amdhsa_user_sgpr_kernarg_segment_ptr 1
		.amdhsa_user_sgpr_dispatch_id 0
		.amdhsa_user_sgpr_kernarg_preload_length 0
		.amdhsa_user_sgpr_kernarg_preload_offset 0
		.amdhsa_user_sgpr_private_segment_size 0
		.amdhsa_uses_dynamic_stack 0
		.amdhsa_enable_private_segment 0
		.amdhsa_system_sgpr_workgroup_id_x 1
		.amdhsa_system_sgpr_workgroup_id_y 0
		.amdhsa_system_sgpr_workgroup_id_z 0
		.amdhsa_system_sgpr_workgroup_info 0
		.amdhsa_system_vgpr_workitem_id 0
		.amdhsa_next_free_vgpr 68
		.amdhsa_next_free_sgpr 28
		.amdhsa_accum_offset 68
		.amdhsa_reserve_vcc 1
		.amdhsa_float_round_mode_32 0
		.amdhsa_float_round_mode_16_64 0
		.amdhsa_float_denorm_mode_32 3
		.amdhsa_float_denorm_mode_16_64 3
		.amdhsa_dx10_clamp 1
		.amdhsa_ieee_mode 1
		.amdhsa_fp16_overflow 0
		.amdhsa_tg_split 0
		.amdhsa_exception_fp_ieee_invalid_op 0
		.amdhsa_exception_fp_denorm_src 0
		.amdhsa_exception_fp_ieee_div_zero 0
		.amdhsa_exception_fp_ieee_overflow 0
		.amdhsa_exception_fp_ieee_underflow 0
		.amdhsa_exception_fp_ieee_inexact 0
		.amdhsa_exception_int_div_zero 0
	.end_amdhsa_kernel
	.text
.Lfunc_end0:
	.size	fft_rtc_fwd_len2400_factors_4_10_10_6_wgs_240_tpt_240_halfLds_sp_op_CI_CI_unitstride_sbrr_dirReg, .Lfunc_end0-fft_rtc_fwd_len2400_factors_4_10_10_6_wgs_240_tpt_240_halfLds_sp_op_CI_CI_unitstride_sbrr_dirReg
                                        ; -- End function
	.section	.AMDGPU.csdata,"",@progbits
; Kernel info:
; codeLenInByte = 6656
; NumSgprs: 34
; NumVgprs: 68
; NumAgprs: 0
; TotalNumVgprs: 68
; ScratchSize: 0
; MemoryBound: 0
; FloatMode: 240
; IeeeMode: 1
; LDSByteSize: 0 bytes/workgroup (compile time only)
; SGPRBlocks: 4
; VGPRBlocks: 8
; NumSGPRsForWavesPerEU: 34
; NumVGPRsForWavesPerEU: 68
; AccumOffset: 68
; Occupancy: 7
; WaveLimiterHint : 1
; COMPUTE_PGM_RSRC2:SCRATCH_EN: 0
; COMPUTE_PGM_RSRC2:USER_SGPR: 2
; COMPUTE_PGM_RSRC2:TRAP_HANDLER: 0
; COMPUTE_PGM_RSRC2:TGID_X_EN: 1
; COMPUTE_PGM_RSRC2:TGID_Y_EN: 0
; COMPUTE_PGM_RSRC2:TGID_Z_EN: 0
; COMPUTE_PGM_RSRC2:TIDIG_COMP_CNT: 0
; COMPUTE_PGM_RSRC3_GFX90A:ACCUM_OFFSET: 16
; COMPUTE_PGM_RSRC3_GFX90A:TG_SPLIT: 0
	.text
	.p2alignl 6, 3212836864
	.fill 256, 4, 3212836864
	.type	__hip_cuid_9b4454286b88d457,@object ; @__hip_cuid_9b4454286b88d457
	.section	.bss,"aw",@nobits
	.globl	__hip_cuid_9b4454286b88d457
__hip_cuid_9b4454286b88d457:
	.byte	0                               ; 0x0
	.size	__hip_cuid_9b4454286b88d457, 1

	.ident	"AMD clang version 19.0.0git (https://github.com/RadeonOpenCompute/llvm-project roc-6.4.0 25133 c7fe45cf4b819c5991fe208aaa96edf142730f1d)"
	.section	".note.GNU-stack","",@progbits
	.addrsig
	.addrsig_sym __hip_cuid_9b4454286b88d457
	.amdgpu_metadata
---
amdhsa.kernels:
  - .agpr_count:     0
    .args:
      - .actual_access:  read_only
        .address_space:  global
        .offset:         0
        .size:           8
        .value_kind:     global_buffer
      - .offset:         8
        .size:           8
        .value_kind:     by_value
      - .actual_access:  read_only
        .address_space:  global
        .offset:         16
        .size:           8
        .value_kind:     global_buffer
      - .actual_access:  read_only
        .address_space:  global
        .offset:         24
        .size:           8
        .value_kind:     global_buffer
      - .actual_access:  read_only
        .address_space:  global
        .offset:         32
        .size:           8
        .value_kind:     global_buffer
      - .offset:         40
        .size:           8
        .value_kind:     by_value
      - .actual_access:  read_only
        .address_space:  global
        .offset:         48
        .size:           8
        .value_kind:     global_buffer
      - .actual_access:  read_only
        .address_space:  global
        .offset:         56
        .size:           8
        .value_kind:     global_buffer
      - .offset:         64
        .size:           4
        .value_kind:     by_value
      - .actual_access:  read_only
        .address_space:  global
        .offset:         72
        .size:           8
        .value_kind:     global_buffer
      - .actual_access:  read_only
        .address_space:  global
        .offset:         80
        .size:           8
        .value_kind:     global_buffer
      - .actual_access:  read_only
        .address_space:  global
        .offset:         88
        .size:           8
        .value_kind:     global_buffer
      - .actual_access:  write_only
        .address_space:  global
        .offset:         96
        .size:           8
        .value_kind:     global_buffer
    .group_segment_fixed_size: 0
    .kernarg_segment_align: 8
    .kernarg_segment_size: 104
    .language:       OpenCL C
    .language_version:
      - 2
      - 0
    .max_flat_workgroup_size: 240
    .name:           fft_rtc_fwd_len2400_factors_4_10_10_6_wgs_240_tpt_240_halfLds_sp_op_CI_CI_unitstride_sbrr_dirReg
    .private_segment_fixed_size: 0
    .sgpr_count:     34
    .sgpr_spill_count: 0
    .symbol:         fft_rtc_fwd_len2400_factors_4_10_10_6_wgs_240_tpt_240_halfLds_sp_op_CI_CI_unitstride_sbrr_dirReg.kd
    .uniform_work_group_size: 1
    .uses_dynamic_stack: false
    .vgpr_count:     68
    .vgpr_spill_count: 0
    .wavefront_size: 64
amdhsa.target:   amdgcn-amd-amdhsa--gfx950
amdhsa.version:
  - 1
  - 2
...

	.end_amdgpu_metadata
